;; amdgpu-corpus repo=ROCm/rocFFT kind=compiled arch=gfx1201 opt=O3
	.text
	.amdgcn_target "amdgcn-amd-amdhsa--gfx1201"
	.amdhsa_code_object_version 6
	.protected	fft_rtc_fwd_len330_factors_11_10_3_wgs_99_tpt_33_dp_op_CI_CI_unitstride_sbrr_C2R_dirReg ; -- Begin function fft_rtc_fwd_len330_factors_11_10_3_wgs_99_tpt_33_dp_op_CI_CI_unitstride_sbrr_C2R_dirReg
	.globl	fft_rtc_fwd_len330_factors_11_10_3_wgs_99_tpt_33_dp_op_CI_CI_unitstride_sbrr_C2R_dirReg
	.p2align	8
	.type	fft_rtc_fwd_len330_factors_11_10_3_wgs_99_tpt_33_dp_op_CI_CI_unitstride_sbrr_C2R_dirReg,@function
fft_rtc_fwd_len330_factors_11_10_3_wgs_99_tpt_33_dp_op_CI_CI_unitstride_sbrr_C2R_dirReg: ; @fft_rtc_fwd_len330_factors_11_10_3_wgs_99_tpt_33_dp_op_CI_CI_unitstride_sbrr_C2R_dirReg
; %bb.0:
	s_load_b128 s[8:11], s[0:1], 0x0
	v_mul_u32_u24_e32 v1, 0x7c2, v0
	s_clause 0x1
	s_load_b128 s[4:7], s[0:1], 0x58
	s_load_b128 s[12:15], s[0:1], 0x18
	v_mov_b32_e32 v5, 0
	v_lshrrev_b32_e32 v3, 16, v1
	v_mov_b32_e32 v1, 0
	v_mov_b32_e32 v2, 0
	s_delay_alu instid0(VALU_DEP_3) | instskip(NEXT) | instid1(VALU_DEP_2)
	v_mad_co_u64_u32 v[3:4], null, ttmp9, 3, v[3:4]
	v_dual_mov_b32 v4, v5 :: v_dual_mov_b32 v49, v2
	s_delay_alu instid0(VALU_DEP_1) | instskip(NEXT) | instid1(VALU_DEP_3)
	v_dual_mov_b32 v48, v1 :: v_dual_mov_b32 v53, v4
	v_mov_b32_e32 v52, v3
	s_wait_kmcnt 0x0
	v_cmp_lt_u64_e64 s2, s[10:11], 2
	s_delay_alu instid0(VALU_DEP_1)
	s_and_b32 vcc_lo, exec_lo, s2
	s_cbranch_vccnz .LBB0_8
; %bb.1:
	s_load_b64 s[2:3], s[0:1], 0x10
	v_dual_mov_b32 v1, 0 :: v_dual_mov_b32 v8, v4
	v_dual_mov_b32 v2, 0 :: v_dual_mov_b32 v7, v3
	s_add_nc_u64 s[16:17], s[14:15], 8
	s_add_nc_u64 s[18:19], s[12:13], 8
	s_mov_b64 s[20:21], 1
	s_delay_alu instid0(VALU_DEP_1)
	v_dual_mov_b32 v49, v2 :: v_dual_mov_b32 v48, v1
	s_wait_kmcnt 0x0
	s_add_nc_u64 s[22:23], s[2:3], 8
	s_mov_b32 s3, 0
.LBB0_2:                                ; =>This Inner Loop Header: Depth=1
	s_load_b64 s[24:25], s[22:23], 0x0
                                        ; implicit-def: $vgpr52_vgpr53
	s_mov_b32 s2, exec_lo
	s_wait_kmcnt 0x0
	v_or_b32_e32 v6, s25, v8
	s_delay_alu instid0(VALU_DEP_1)
	v_cmpx_ne_u64_e32 0, v[5:6]
	s_wait_alu 0xfffe
	s_xor_b32 s26, exec_lo, s2
	s_cbranch_execz .LBB0_4
; %bb.3:                                ;   in Loop: Header=BB0_2 Depth=1
	s_cvt_f32_u32 s2, s24
	s_cvt_f32_u32 s27, s25
	s_sub_nc_u64 s[30:31], 0, s[24:25]
	s_wait_alu 0xfffe
	s_delay_alu instid0(SALU_CYCLE_1) | instskip(SKIP_1) | instid1(SALU_CYCLE_2)
	s_fmamk_f32 s2, s27, 0x4f800000, s2
	s_wait_alu 0xfffe
	v_s_rcp_f32 s2, s2
	s_delay_alu instid0(TRANS32_DEP_1) | instskip(SKIP_1) | instid1(SALU_CYCLE_2)
	s_mul_f32 s2, s2, 0x5f7ffffc
	s_wait_alu 0xfffe
	s_mul_f32 s27, s2, 0x2f800000
	s_wait_alu 0xfffe
	s_delay_alu instid0(SALU_CYCLE_2) | instskip(SKIP_1) | instid1(SALU_CYCLE_2)
	s_trunc_f32 s27, s27
	s_wait_alu 0xfffe
	s_fmamk_f32 s2, s27, 0xcf800000, s2
	s_cvt_u32_f32 s29, s27
	s_wait_alu 0xfffe
	s_delay_alu instid0(SALU_CYCLE_1) | instskip(SKIP_1) | instid1(SALU_CYCLE_2)
	s_cvt_u32_f32 s28, s2
	s_wait_alu 0xfffe
	s_mul_u64 s[34:35], s[30:31], s[28:29]
	s_wait_alu 0xfffe
	s_mul_hi_u32 s37, s28, s35
	s_mul_i32 s36, s28, s35
	s_mul_hi_u32 s2, s28, s34
	s_mul_i32 s33, s29, s34
	s_wait_alu 0xfffe
	s_add_nc_u64 s[36:37], s[2:3], s[36:37]
	s_mul_hi_u32 s27, s29, s34
	s_mul_hi_u32 s38, s29, s35
	s_add_co_u32 s2, s36, s33
	s_wait_alu 0xfffe
	s_add_co_ci_u32 s2, s37, s27
	s_mul_i32 s34, s29, s35
	s_add_co_ci_u32 s35, s38, 0
	s_wait_alu 0xfffe
	s_add_nc_u64 s[34:35], s[2:3], s[34:35]
	s_wait_alu 0xfffe
	v_add_co_u32 v4, s2, s28, s34
	s_delay_alu instid0(VALU_DEP_1) | instskip(SKIP_1) | instid1(VALU_DEP_1)
	s_cmp_lg_u32 s2, 0
	s_add_co_ci_u32 s29, s29, s35
	v_readfirstlane_b32 s28, v4
	s_wait_alu 0xfffe
	s_delay_alu instid0(VALU_DEP_1)
	s_mul_u64 s[30:31], s[30:31], s[28:29]
	s_wait_alu 0xfffe
	s_mul_hi_u32 s35, s28, s31
	s_mul_i32 s34, s28, s31
	s_mul_hi_u32 s2, s28, s30
	s_mul_i32 s33, s29, s30
	s_wait_alu 0xfffe
	s_add_nc_u64 s[34:35], s[2:3], s[34:35]
	s_mul_hi_u32 s27, s29, s30
	s_mul_hi_u32 s28, s29, s31
	s_wait_alu 0xfffe
	s_add_co_u32 s2, s34, s33
	s_add_co_ci_u32 s2, s35, s27
	s_mul_i32 s30, s29, s31
	s_add_co_ci_u32 s31, s28, 0
	s_wait_alu 0xfffe
	s_add_nc_u64 s[30:31], s[2:3], s[30:31]
	s_wait_alu 0xfffe
	v_add_co_u32 v4, s2, v4, s30
	s_delay_alu instid0(VALU_DEP_1) | instskip(SKIP_1) | instid1(VALU_DEP_1)
	s_cmp_lg_u32 s2, 0
	s_add_co_ci_u32 s2, s29, s31
	v_mul_hi_u32 v6, v7, v4
	s_wait_alu 0xfffe
	v_mad_co_u64_u32 v[9:10], null, v7, s2, 0
	v_mad_co_u64_u32 v[11:12], null, v8, v4, 0
	;; [unrolled: 1-line block ×3, first 2 shown]
	s_delay_alu instid0(VALU_DEP_3) | instskip(SKIP_1) | instid1(VALU_DEP_4)
	v_add_co_u32 v4, vcc_lo, v6, v9
	s_wait_alu 0xfffd
	v_add_co_ci_u32_e32 v6, vcc_lo, 0, v10, vcc_lo
	s_delay_alu instid0(VALU_DEP_2) | instskip(SKIP_1) | instid1(VALU_DEP_2)
	v_add_co_u32 v4, vcc_lo, v4, v11
	s_wait_alu 0xfffd
	v_add_co_ci_u32_e32 v4, vcc_lo, v6, v12, vcc_lo
	s_wait_alu 0xfffd
	v_add_co_ci_u32_e32 v6, vcc_lo, 0, v14, vcc_lo
	s_delay_alu instid0(VALU_DEP_2) | instskip(SKIP_1) | instid1(VALU_DEP_2)
	v_add_co_u32 v4, vcc_lo, v4, v13
	s_wait_alu 0xfffd
	v_add_co_ci_u32_e32 v6, vcc_lo, 0, v6, vcc_lo
	s_delay_alu instid0(VALU_DEP_2) | instskip(SKIP_1) | instid1(VALU_DEP_3)
	v_mul_lo_u32 v11, s25, v4
	v_mad_co_u64_u32 v[9:10], null, s24, v4, 0
	v_mul_lo_u32 v12, s24, v6
	s_delay_alu instid0(VALU_DEP_2) | instskip(NEXT) | instid1(VALU_DEP_2)
	v_sub_co_u32 v9, vcc_lo, v7, v9
	v_add3_u32 v10, v10, v12, v11
	s_delay_alu instid0(VALU_DEP_1) | instskip(SKIP_1) | instid1(VALU_DEP_1)
	v_sub_nc_u32_e32 v11, v8, v10
	s_wait_alu 0xfffd
	v_subrev_co_ci_u32_e64 v11, s2, s25, v11, vcc_lo
	v_add_co_u32 v12, s2, v4, 2
	s_wait_alu 0xf1ff
	v_add_co_ci_u32_e64 v13, s2, 0, v6, s2
	v_sub_co_u32 v14, s2, v9, s24
	v_sub_co_ci_u32_e32 v10, vcc_lo, v8, v10, vcc_lo
	s_wait_alu 0xf1ff
	v_subrev_co_ci_u32_e64 v11, s2, 0, v11, s2
	s_delay_alu instid0(VALU_DEP_3) | instskip(NEXT) | instid1(VALU_DEP_3)
	v_cmp_le_u32_e32 vcc_lo, s24, v14
	v_cmp_eq_u32_e64 s2, s25, v10
	s_wait_alu 0xfffd
	v_cndmask_b32_e64 v14, 0, -1, vcc_lo
	v_cmp_le_u32_e32 vcc_lo, s25, v11
	s_wait_alu 0xfffd
	v_cndmask_b32_e64 v15, 0, -1, vcc_lo
	v_cmp_le_u32_e32 vcc_lo, s24, v9
	;; [unrolled: 3-line block ×3, first 2 shown]
	s_wait_alu 0xfffd
	v_cndmask_b32_e64 v16, 0, -1, vcc_lo
	v_cmp_eq_u32_e32 vcc_lo, s25, v11
	s_wait_alu 0xf1ff
	s_delay_alu instid0(VALU_DEP_2)
	v_cndmask_b32_e64 v9, v16, v9, s2
	s_wait_alu 0xfffd
	v_cndmask_b32_e32 v11, v15, v14, vcc_lo
	v_add_co_u32 v14, vcc_lo, v4, 1
	s_wait_alu 0xfffd
	v_add_co_ci_u32_e32 v15, vcc_lo, 0, v6, vcc_lo
	s_delay_alu instid0(VALU_DEP_3) | instskip(SKIP_1) | instid1(VALU_DEP_2)
	v_cmp_ne_u32_e32 vcc_lo, 0, v11
	s_wait_alu 0xfffd
	v_dual_cndmask_b32 v10, v15, v13 :: v_dual_cndmask_b32 v11, v14, v12
	v_cmp_ne_u32_e32 vcc_lo, 0, v9
	s_wait_alu 0xfffd
	s_delay_alu instid0(VALU_DEP_2)
	v_dual_cndmask_b32 v53, v6, v10 :: v_dual_cndmask_b32 v52, v4, v11
.LBB0_4:                                ;   in Loop: Header=BB0_2 Depth=1
	s_wait_alu 0xfffe
	s_and_not1_saveexec_b32 s2, s26
	s_cbranch_execz .LBB0_6
; %bb.5:                                ;   in Loop: Header=BB0_2 Depth=1
	v_cvt_f32_u32_e32 v4, s24
	s_sub_co_i32 s26, 0, s24
	v_mov_b32_e32 v53, v5
	s_delay_alu instid0(VALU_DEP_2) | instskip(NEXT) | instid1(TRANS32_DEP_1)
	v_rcp_iflag_f32_e32 v4, v4
	v_mul_f32_e32 v4, 0x4f7ffffe, v4
	s_delay_alu instid0(VALU_DEP_1) | instskip(SKIP_1) | instid1(VALU_DEP_1)
	v_cvt_u32_f32_e32 v4, v4
	s_wait_alu 0xfffe
	v_mul_lo_u32 v6, s26, v4
	s_delay_alu instid0(VALU_DEP_1) | instskip(NEXT) | instid1(VALU_DEP_1)
	v_mul_hi_u32 v6, v4, v6
	v_add_nc_u32_e32 v4, v4, v6
	s_delay_alu instid0(VALU_DEP_1) | instskip(NEXT) | instid1(VALU_DEP_1)
	v_mul_hi_u32 v4, v7, v4
	v_mul_lo_u32 v6, v4, s24
	s_delay_alu instid0(VALU_DEP_1) | instskip(NEXT) | instid1(VALU_DEP_1)
	v_sub_nc_u32_e32 v6, v7, v6
	v_subrev_nc_u32_e32 v10, s24, v6
	v_cmp_le_u32_e32 vcc_lo, s24, v6
	s_wait_alu 0xfffd
	s_delay_alu instid0(VALU_DEP_2) | instskip(NEXT) | instid1(VALU_DEP_1)
	v_dual_cndmask_b32 v6, v6, v10 :: v_dual_add_nc_u32 v9, 1, v4
	v_cndmask_b32_e32 v4, v4, v9, vcc_lo
	s_delay_alu instid0(VALU_DEP_2) | instskip(NEXT) | instid1(VALU_DEP_2)
	v_cmp_le_u32_e32 vcc_lo, s24, v6
	v_add_nc_u32_e32 v9, 1, v4
	s_wait_alu 0xfffd
	s_delay_alu instid0(VALU_DEP_1)
	v_cndmask_b32_e32 v52, v4, v9, vcc_lo
.LBB0_6:                                ;   in Loop: Header=BB0_2 Depth=1
	s_wait_alu 0xfffe
	s_or_b32 exec_lo, exec_lo, s2
	v_mul_lo_u32 v4, v53, s24
	s_delay_alu instid0(VALU_DEP_2)
	v_mul_lo_u32 v6, v52, s25
	s_load_b64 s[26:27], s[18:19], 0x0
	v_mad_co_u64_u32 v[9:10], null, v52, s24, 0
	s_load_b64 s[24:25], s[16:17], 0x0
	s_add_nc_u64 s[20:21], s[20:21], 1
	s_add_nc_u64 s[16:17], s[16:17], 8
	s_wait_alu 0xfffe
	v_cmp_ge_u64_e64 s2, s[20:21], s[10:11]
	s_add_nc_u64 s[18:19], s[18:19], 8
	s_add_nc_u64 s[22:23], s[22:23], 8
	v_add3_u32 v4, v10, v6, v4
	v_sub_co_u32 v6, vcc_lo, v7, v9
	s_wait_alu 0xfffd
	s_delay_alu instid0(VALU_DEP_2) | instskip(SKIP_2) | instid1(VALU_DEP_1)
	v_sub_co_ci_u32_e32 v4, vcc_lo, v8, v4, vcc_lo
	s_and_b32 vcc_lo, exec_lo, s2
	s_wait_kmcnt 0x0
	v_mul_lo_u32 v7, s26, v4
	v_mul_lo_u32 v8, s27, v6
	v_mad_co_u64_u32 v[1:2], null, s26, v6, v[1:2]
	v_mul_lo_u32 v4, s24, v4
	v_mul_lo_u32 v9, s25, v6
	v_mad_co_u64_u32 v[48:49], null, s24, v6, v[48:49]
	s_delay_alu instid0(VALU_DEP_4) | instskip(NEXT) | instid1(VALU_DEP_2)
	v_add3_u32 v2, v8, v2, v7
	v_add3_u32 v49, v9, v49, v4
	s_wait_alu 0xfffe
	s_cbranch_vccnz .LBB0_8
; %bb.7:                                ;   in Loop: Header=BB0_2 Depth=1
	v_dual_mov_b32 v7, v52 :: v_dual_mov_b32 v8, v53
	s_branch .LBB0_2
.LBB0_8:
	s_load_b64 s[0:1], s[0:1], 0x28
	v_mul_hi_u32 v4, 0xaaaaaaab, v3
	s_lshl_b64 s[10:11], s[10:11], 3
                                        ; implicit-def: $vgpr50
	s_wait_alu 0xfffe
	s_add_nc_u64 s[2:3], s[14:15], s[10:11]
	s_delay_alu instid0(VALU_DEP_1) | instskip(NEXT) | instid1(VALU_DEP_1)
	v_lshrrev_b32_e32 v4, 1, v4
	v_lshl_add_u32 v5, v4, 1, v4
	v_mul_hi_u32 v4, 0x7c1f07d, v0
	s_delay_alu instid0(VALU_DEP_2) | instskip(SKIP_3) | instid1(VALU_DEP_1)
	v_sub_nc_u32_e32 v3, v3, v5
	s_wait_kmcnt 0x0
	v_cmp_gt_u64_e32 vcc_lo, s[0:1], v[52:53]
	v_cmp_le_u64_e64 s0, s[0:1], v[52:53]
	s_and_saveexec_b32 s1, s0
	s_wait_alu 0xfffe
	s_xor_b32 s0, exec_lo, s1
; %bb.9:
	v_mul_u32_u24_e32 v1, 33, v4
                                        ; implicit-def: $vgpr4
	s_delay_alu instid0(VALU_DEP_1)
	v_sub_nc_u32_e32 v50, v0, v1
                                        ; implicit-def: $vgpr0
                                        ; implicit-def: $vgpr1_vgpr2
; %bb.10:
	s_wait_alu 0xfffe
	s_or_saveexec_b32 s1, s0
	s_load_b64 s[2:3], s[2:3], 0x0
	v_mul_u32_u24_e32 v10, 0x14b, v3
	s_delay_alu instid0(VALU_DEP_1)
	v_lshlrev_b32_e32 v115, 4, v10
	s_xor_b32 exec_lo, exec_lo, s1
	s_cbranch_execz .LBB0_14
; %bb.11:
	s_add_nc_u64 s[10:11], s[12:13], s[10:11]
	v_lshlrev_b64_e32 v[1:2], 4, v[1:2]
	s_load_b64 s[10:11], s[10:11], 0x0
	s_wait_kmcnt 0x0
	v_mul_lo_u32 v3, s11, v52
	v_mul_lo_u32 v7, s10, v53
	v_mad_co_u64_u32 v[5:6], null, s10, v52, 0
	s_delay_alu instid0(VALU_DEP_1) | instskip(SKIP_1) | instid1(VALU_DEP_2)
	v_add3_u32 v6, v6, v7, v3
	v_mul_u32_u24_e32 v7, 33, v4
	v_lshlrev_b64_e32 v[3:4], 4, v[5:6]
	s_delay_alu instid0(VALU_DEP_2) | instskip(NEXT) | instid1(VALU_DEP_1)
	v_sub_nc_u32_e32 v50, v0, v7
	v_lshlrev_b32_e32 v9, 4, v50
	s_delay_alu instid0(VALU_DEP_3) | instskip(SKIP_1) | instid1(VALU_DEP_4)
	v_add_co_u32 v0, s0, s4, v3
	s_wait_alu 0xf1ff
	v_add_co_ci_u32_e64 v3, s0, s5, v4, s0
	s_mov_b32 s4, exec_lo
	s_delay_alu instid0(VALU_DEP_2) | instskip(SKIP_1) | instid1(VALU_DEP_2)
	v_add_co_u32 v0, s0, v0, v1
	s_wait_alu 0xf1ff
	v_add_co_ci_u32_e64 v1, s0, v3, v2, s0
	v_add3_u32 v2, 0, v115, v9
	s_delay_alu instid0(VALU_DEP_3) | instskip(SKIP_1) | instid1(VALU_DEP_3)
	v_add_co_u32 v7, s0, v0, v9
	s_wait_alu 0xf1ff
	v_add_co_ci_u32_e64 v8, s0, 0, v1, s0
	s_clause 0x9
	global_load_b128 v[3:6], v[7:8], off
	global_load_b128 v[11:14], v[7:8], off offset:528
	global_load_b128 v[15:18], v[7:8], off offset:1056
	;; [unrolled: 1-line block ×9, first 2 shown]
	s_wait_loadcnt 0x9
	ds_store_b128 v2, v[3:6]
	s_wait_loadcnt 0x8
	ds_store_b128 v2, v[11:14] offset:528
	s_wait_loadcnt 0x7
	ds_store_b128 v2, v[15:18] offset:1056
	;; [unrolled: 2-line block ×9, first 2 shown]
	v_cmpx_eq_u32_e32 32, v50
	s_cbranch_execz .LBB0_13
; %bb.12:
	global_load_b128 v[3:6], v[0:1], off offset:5280
	v_mov_b32_e32 v50, 32
	s_wait_loadcnt 0x0
	ds_store_b128 v2, v[3:6] offset:4768
.LBB0_13:
	s_wait_alu 0xfffe
	s_or_b32 exec_lo, exec_lo, s4
.LBB0_14:
	s_delay_alu instid0(SALU_CYCLE_1)
	s_or_b32 exec_lo, exec_lo, s1
	v_lshl_add_u32 v114, v10, 4, 0
	v_lshlrev_b32_e32 v0, 4, v50
	global_wb scope:SCOPE_SE
	s_wait_dscnt 0x0
	s_wait_kmcnt 0x0
	s_barrier_signal -1
	s_barrier_wait -1
	global_inv scope:SCOPE_SE
	v_add_nc_u32_e32 v116, v114, v0
	v_sub_nc_u32_e32 v11, v114, v0
	s_mov_b32 s1, exec_lo
                                        ; implicit-def: $vgpr4_vgpr5
	ds_load_b64 v[6:7], v116
	ds_load_b64 v[8:9], v11 offset:5280
	s_wait_dscnt 0x0
	v_add_f64_e32 v[0:1], v[6:7], v[8:9]
	v_add_f64_e64 v[2:3], v[6:7], -v[8:9]
	v_cmpx_ne_u32_e32 0, v50
	s_wait_alu 0xfffe
	s_xor_b32 s1, exec_lo, s1
	s_cbranch_execz .LBB0_16
; %bb.15:
	v_mov_b32_e32 v51, 0
	v_add_f64_e32 v[14:15], v[6:7], v[8:9]
	v_add_f64_e64 v[16:17], v[6:7], -v[8:9]
	s_delay_alu instid0(VALU_DEP_3) | instskip(NEXT) | instid1(VALU_DEP_1)
	v_lshlrev_b64_e32 v[0:1], 4, v[50:51]
	v_add_co_u32 v0, s0, s8, v0
	s_wait_alu 0xf1ff
	s_delay_alu instid0(VALU_DEP_2)
	v_add_co_ci_u32_e64 v1, s0, s9, v1, s0
	global_load_b128 v[2:5], v[0:1], off offset:5104
	ds_load_b64 v[0:1], v11 offset:5288
	ds_load_b64 v[12:13], v116 offset:8
	s_wait_dscnt 0x0
	v_add_f64_e32 v[6:7], v[0:1], v[12:13]
	v_add_f64_e64 v[0:1], v[12:13], -v[0:1]
	s_wait_loadcnt 0x0
	v_fma_f64 v[8:9], v[16:17], v[4:5], v[14:15]
	v_fma_f64 v[12:13], -v[16:17], v[4:5], v[14:15]
	s_delay_alu instid0(VALU_DEP_3) | instskip(SKIP_1) | instid1(VALU_DEP_4)
	v_fma_f64 v[14:15], v[6:7], v[4:5], -v[0:1]
	v_fma_f64 v[4:5], v[6:7], v[4:5], v[0:1]
	v_fma_f64 v[0:1], -v[6:7], v[2:3], v[8:9]
	s_delay_alu instid0(VALU_DEP_4) | instskip(NEXT) | instid1(VALU_DEP_4)
	v_fma_f64 v[6:7], v[6:7], v[2:3], v[12:13]
	v_fma_f64 v[8:9], v[16:17], v[2:3], v[14:15]
	s_delay_alu instid0(VALU_DEP_4)
	v_fma_f64 v[2:3], v[16:17], v[2:3], v[4:5]
	v_dual_mov_b32 v4, v50 :: v_dual_mov_b32 v5, v51
	ds_store_b128 v11, v[6:9] offset:5280
.LBB0_16:
	s_wait_alu 0xfffe
	s_and_not1_saveexec_b32 s0, s1
	s_cbranch_execz .LBB0_18
; %bb.17:
	ds_load_b128 v[4:7], v114 offset:2640
	s_wait_dscnt 0x0
	v_add_f64_e32 v[12:13], v[4:5], v[4:5]
	v_mul_f64_e32 v[14:15], -2.0, v[6:7]
	v_mov_b32_e32 v4, 0
	v_mov_b32_e32 v5, 0
	ds_store_b128 v114, v[12:15] offset:2640
.LBB0_18:
	s_wait_alu 0xfffe
	s_or_b32 exec_lo, exec_lo, s0
	v_lshlrev_b64_e32 v[4:5], 4, v[4:5]
	s_add_nc_u64 s[0:1], s[8:9], 0x13f0
	v_lshl_add_u32 v117, v50, 4, 0
	s_mov_b32 s4, 0xf8bb580b
	s_mov_b32 s5, 0xbfe14ced
	;; [unrolled: 1-line block ×3, first 2 shown]
	s_wait_alu 0xfffe
	v_add_co_u32 v24, s0, s0, v4
	s_wait_alu 0xf1ff
	v_add_co_ci_u32_e64 v25, s0, s1, v5, s0
	v_lshl_add_u32 v51, v10, 4, v117
	s_mov_b32 s12, 0x8eee2c13
	s_mov_b32 s11, 0x3feaeb8c
	s_clause 0x1
	global_load_b128 v[4:7], v[24:25], off offset:528
	global_load_b128 v[12:15], v[24:25], off offset:1056
	ds_store_b128 v116, v[0:3]
	ds_load_b128 v[0:3], v116 offset:528
	ds_load_b128 v[16:19], v11 offset:4752
	global_load_b128 v[20:23], v[24:25], off offset:1584
	s_mov_b32 s13, 0xbfed1bb4
	s_mov_b32 s14, 0xd9c712b6
	;; [unrolled: 1-line block ×15, first 2 shown]
	s_mov_b32 s33, exec_lo
	s_wait_dscnt 0x0
	v_add_f64_e32 v[8:9], v[0:1], v[16:17]
	v_add_f64_e32 v[26:27], v[18:19], v[2:3]
	v_add_f64_e64 v[16:17], v[0:1], -v[16:17]
	v_add_f64_e64 v[0:1], v[2:3], -v[18:19]
	s_wait_loadcnt 0x2
	s_delay_alu instid0(VALU_DEP_2) | instskip(NEXT) | instid1(VALU_DEP_2)
	v_fma_f64 v[2:3], v[16:17], v[6:7], v[8:9]
	v_fma_f64 v[18:19], v[26:27], v[6:7], v[0:1]
	v_fma_f64 v[8:9], -v[16:17], v[6:7], v[8:9]
	v_fma_f64 v[28:29], v[26:27], v[6:7], -v[0:1]
	s_delay_alu instid0(VALU_DEP_4) | instskip(NEXT) | instid1(VALU_DEP_4)
	v_fma_f64 v[0:1], -v[26:27], v[4:5], v[2:3]
	v_fma_f64 v[2:3], v[16:17], v[4:5], v[18:19]
	s_delay_alu instid0(VALU_DEP_4) | instskip(NEXT) | instid1(VALU_DEP_4)
	v_fma_f64 v[6:7], v[26:27], v[4:5], v[8:9]
	v_fma_f64 v[8:9], v[16:17], v[4:5], v[28:29]
	ds_store_b128 v116, v[0:3] offset:528
	ds_store_b128 v11, v[6:9] offset:4752
	ds_load_b128 v[0:3], v116 offset:1056
	ds_load_b128 v[4:7], v11 offset:4224
	global_load_b128 v[16:19], v[24:25], off offset:2112
	s_wait_dscnt 0x0
	v_add_f64_e32 v[8:9], v[0:1], v[4:5]
	v_add_f64_e32 v[24:25], v[6:7], v[2:3]
	v_add_f64_e64 v[26:27], v[0:1], -v[4:5]
	v_add_f64_e64 v[0:1], v[2:3], -v[6:7]
	s_wait_loadcnt 0x2
	s_delay_alu instid0(VALU_DEP_2) | instskip(NEXT) | instid1(VALU_DEP_2)
	v_fma_f64 v[2:3], v[26:27], v[14:15], v[8:9]
	v_fma_f64 v[4:5], v[24:25], v[14:15], v[0:1]
	v_fma_f64 v[6:7], -v[26:27], v[14:15], v[8:9]
	v_fma_f64 v[8:9], v[24:25], v[14:15], -v[0:1]
	s_delay_alu instid0(VALU_DEP_4) | instskip(NEXT) | instid1(VALU_DEP_4)
	v_fma_f64 v[0:1], -v[24:25], v[12:13], v[2:3]
	v_fma_f64 v[2:3], v[26:27], v[12:13], v[4:5]
	s_delay_alu instid0(VALU_DEP_4) | instskip(NEXT) | instid1(VALU_DEP_4)
	v_fma_f64 v[4:5], v[24:25], v[12:13], v[6:7]
	v_fma_f64 v[6:7], v[26:27], v[12:13], v[8:9]
	ds_store_b128 v116, v[0:3] offset:1056
	ds_store_b128 v11, v[4:7] offset:4224
	ds_load_b128 v[0:3], v116 offset:1584
	ds_load_b128 v[4:7], v11 offset:3696
	s_wait_dscnt 0x0
	v_add_f64_e32 v[8:9], v[0:1], v[4:5]
	v_add_f64_e32 v[12:13], v[6:7], v[2:3]
	v_add_f64_e64 v[14:15], v[0:1], -v[4:5]
	v_add_f64_e64 v[0:1], v[2:3], -v[6:7]
	s_wait_loadcnt 0x1
	s_delay_alu instid0(VALU_DEP_2) | instskip(NEXT) | instid1(VALU_DEP_2)
	v_fma_f64 v[2:3], v[14:15], v[22:23], v[8:9]
	v_fma_f64 v[4:5], v[12:13], v[22:23], v[0:1]
	v_fma_f64 v[6:7], -v[14:15], v[22:23], v[8:9]
	v_fma_f64 v[8:9], v[12:13], v[22:23], -v[0:1]
	s_delay_alu instid0(VALU_DEP_4) | instskip(NEXT) | instid1(VALU_DEP_4)
	v_fma_f64 v[0:1], -v[12:13], v[20:21], v[2:3]
	v_fma_f64 v[2:3], v[14:15], v[20:21], v[4:5]
	s_delay_alu instid0(VALU_DEP_4) | instskip(NEXT) | instid1(VALU_DEP_4)
	v_fma_f64 v[4:5], v[12:13], v[20:21], v[6:7]
	v_fma_f64 v[6:7], v[14:15], v[20:21], v[8:9]
	ds_store_b128 v116, v[0:3] offset:1584
	ds_store_b128 v11, v[4:7] offset:3696
	ds_load_b128 v[0:3], v116 offset:2112
	ds_load_b128 v[4:7], v11 offset:3168
	s_wait_dscnt 0x0
	v_add_f64_e32 v[8:9], v[0:1], v[4:5]
	v_add_f64_e32 v[12:13], v[6:7], v[2:3]
	v_add_f64_e64 v[14:15], v[0:1], -v[4:5]
	v_add_f64_e64 v[0:1], v[2:3], -v[6:7]
	s_wait_loadcnt 0x0
	s_delay_alu instid0(VALU_DEP_2) | instskip(NEXT) | instid1(VALU_DEP_2)
	v_fma_f64 v[2:3], v[14:15], v[18:19], v[8:9]
	v_fma_f64 v[4:5], v[12:13], v[18:19], v[0:1]
	v_fma_f64 v[6:7], -v[14:15], v[18:19], v[8:9]
	v_fma_f64 v[8:9], v[12:13], v[18:19], -v[0:1]
	s_delay_alu instid0(VALU_DEP_4) | instskip(NEXT) | instid1(VALU_DEP_4)
	v_fma_f64 v[0:1], -v[12:13], v[16:17], v[2:3]
	v_fma_f64 v[2:3], v[14:15], v[16:17], v[4:5]
	s_delay_alu instid0(VALU_DEP_4) | instskip(NEXT) | instid1(VALU_DEP_4)
	v_fma_f64 v[4:5], v[12:13], v[16:17], v[6:7]
	v_fma_f64 v[6:7], v[14:15], v[16:17], v[8:9]
	ds_store_b128 v116, v[0:3] offset:2112
	ds_store_b128 v11, v[4:7] offset:3168
	global_wb scope:SCOPE_SE
	s_wait_dscnt 0x0
	s_barrier_signal -1
	s_barrier_wait -1
	global_inv scope:SCOPE_SE
	global_wb scope:SCOPE_SE
	s_barrier_signal -1
	s_barrier_wait -1
	global_inv scope:SCOPE_SE
	ds_load_b128 v[4:7], v51 offset:4800
	ds_load_b128 v[36:39], v51 offset:480
	ds_load_b128 v[20:23], v116
	ds_load_b128 v[8:11], v51 offset:4320
	ds_load_b128 v[44:47], v51 offset:960
	ds_load_b128 v[40:43], v51 offset:1440
	ds_load_b128 v[12:15], v51 offset:3840
	ds_load_b128 v[16:19], v51 offset:3360
	ds_load_b128 v[32:35], v51 offset:1920
	ds_load_b128 v[24:27], v51 offset:2400
	ds_load_b128 v[28:31], v51 offset:2880
	global_wb scope:SCOPE_SE
	s_wait_dscnt 0x0
	s_barrier_signal -1
	s_barrier_wait -1
	global_inv scope:SCOPE_SE
	v_add_f64_e64 v[110:111], v[38:39], -v[6:7]
	v_add_f64_e64 v[74:75], v[36:37], -v[4:5]
	v_add_f64_e32 v[78:79], v[36:37], v[4:5]
	v_add_f64_e32 v[112:113], v[38:39], v[6:7]
	v_add_f64_e64 v[92:93], v[46:47], -v[10:11]
	v_add_f64_e64 v[70:71], v[44:45], -v[8:9]
	v_add_f64_e32 v[56:57], v[44:45], v[8:9]
	v_add_f64_e32 v[104:105], v[46:47], v[10:11]
	;; [unrolled: 4-line block ×4, first 2 shown]
	v_add_f64_e64 v[96:97], v[26:27], -v[30:31]
	v_add_f64_e64 v[58:59], v[24:25], -v[28:29]
	v_add_f64_e32 v[102:103], v[26:27], v[30:31]
	v_mul_f64_e32 v[80:81], s[4:5], v[110:111]
	v_mul_f64_e32 v[82:83], s[4:5], v[74:75]
	;; [unrolled: 1-line block ×8, first 2 shown]
	s_wait_alu 0xfffe
	v_mul_f64_e32 v[64:65], s[24:25], v[58:59]
	v_fma_f64 v[0:1], v[78:79], s[10:11], v[80:81]
	v_fma_f64 v[2:3], v[112:113], s[10:11], -v[82:83]
	v_fma_f64 v[60:61], v[56:57], s[14:15], v[72:73]
	v_fma_f64 v[62:63], v[104:105], s[14:15], -v[76:77]
	;; [unrolled: 2-line block ×4, first 2 shown]
	v_add_f64_e32 v[0:1], v[20:21], v[0:1]
	v_add_f64_e32 v[2:3], v[22:23], v[2:3]
	s_delay_alu instid0(VALU_DEP_2) | instskip(NEXT) | instid1(VALU_DEP_2)
	v_add_f64_e32 v[0:1], v[60:61], v[0:1]
	v_add_f64_e32 v[2:3], v[62:63], v[2:3]
	;; [unrolled: 1-line block ×3, first 2 shown]
	v_mul_f64_e32 v[62:63], s[24:25], v[96:97]
	s_delay_alu instid0(VALU_DEP_4) | instskip(NEXT) | instid1(VALU_DEP_4)
	v_add_f64_e32 v[0:1], v[118:119], v[0:1]
	v_add_f64_e32 v[2:3], v[120:121], v[2:3]
	v_fma_f64 v[120:121], v[102:103], s[26:27], -v[64:65]
	s_delay_alu instid0(VALU_DEP_4) | instskip(NEXT) | instid1(VALU_DEP_4)
	v_fma_f64 v[118:119], v[60:61], s[26:27], v[62:63]
	v_add_f64_e32 v[0:1], v[122:123], v[0:1]
	s_delay_alu instid0(VALU_DEP_4) | instskip(NEXT) | instid1(VALU_DEP_2)
	v_add_f64_e32 v[2:3], v[124:125], v[2:3]
	v_add_f64_e32 v[0:1], v[118:119], v[0:1]
	s_delay_alu instid0(VALU_DEP_2)
	v_add_f64_e32 v[2:3], v[120:121], v[2:3]
	v_cmpx_gt_u32_e32 30, v50
	s_cbranch_execz .LBB0_20
; %bb.19:
	v_add_f64_e32 v[38:39], v[22:23], v[38:39]
	v_add_f64_e32 v[36:37], v[20:21], v[36:37]
	v_mul_f64_e32 v[118:119], s[22:23], v[112:113]
	v_mul_f64_e32 v[120:121], s[18:19], v[110:111]
	;; [unrolled: 1-line block ×4, first 2 shown]
	s_mov_b32 s37, 0x3fd207e7
	s_mov_b32 s36, s24
	;; [unrolled: 1-line block ×10, first 2 shown]
	v_mul_f64_e32 v[128:129], s[22:23], v[106:107]
	v_mul_f64_e32 v[142:143], s[10:11], v[104:105]
	;; [unrolled: 1-line block ×7, first 2 shown]
	s_wait_alu 0xfffe
	v_mul_f64_e32 v[174:175], s[34:35], v[92:93]
	v_mul_f64_e32 v[176:177], s[28:29], v[92:93]
	;; [unrolled: 1-line block ×15, first 2 shown]
	v_add_f64_e32 v[38:39], v[38:39], v[46:47]
	v_add_f64_e32 v[36:37], v[36:37], v[44:45]
	v_mul_f64_e32 v[44:45], s[26:27], v[112:113]
	v_mul_f64_e32 v[46:47], s[24:25], v[110:111]
	v_fma_f64 v[182:183], v[74:75], s[0:1], v[118:119]
	v_fma_f64 v[184:185], v[78:79], s[22:23], v[120:121]
	;; [unrolled: 1-line block ×3, first 2 shown]
	v_fma_f64 v[120:121], v[78:79], s[22:23], -v[120:121]
	v_fma_f64 v[186:187], v[74:75], s[28:29], v[122:123]
	v_fma_f64 v[188:189], v[78:79], s[20:21], v[124:125]
	v_fma_f64 v[122:123], v[74:75], s[16:17], v[122:123]
	v_fma_f64 v[124:125], v[78:79], s[20:21], -v[124:125]
	v_mul_f64_e32 v[108:109], s[22:23], v[108:109]
	v_mul_f64_e32 v[162:163], s[24:25], v[90:91]
	;; [unrolled: 1-line block ×8, first 2 shown]
	v_add_f64_e32 v[76:77], v[76:77], v[104:105]
	v_fma_f64 v[104:105], v[56:57], s[22:23], -v[154:155]
	v_add_f64_e64 v[72:73], v[152:153], -v[72:73]
	v_fma_f64 v[152:153], v[56:57], s[10:11], -v[174:175]
	v_add_f64_e64 v[98:99], v[150:151], -v[98:99]
	v_fma_f64 v[150:151], v[94:95], s[10:11], -v[158:159]
	v_add_f64_e32 v[38:39], v[38:39], v[42:43]
	v_add_f64_e32 v[36:37], v[36:37], v[40:41]
	v_mul_f64_e32 v[40:41], s[14:15], v[112:113]
	v_mul_f64_e32 v[42:43], s[12:13], v[110:111]
	;; [unrolled: 1-line block ×4, first 2 shown]
	v_fma_f64 v[178:179], v[74:75], s[36:37], v[44:45]
	v_fma_f64 v[180:181], v[78:79], s[26:27], v[46:47]
	;; [unrolled: 1-line block ×3, first 2 shown]
	v_fma_f64 v[46:47], v[78:79], s[26:27], -v[46:47]
	v_add_f64_e32 v[182:183], v[22:23], v[182:183]
	v_add_f64_e32 v[118:119], v[22:23], v[118:119]
	;; [unrolled: 1-line block ×9, first 2 shown]
	v_fma_f64 v[108:109], v[66:67], s[26:27], v[162:163]
	v_add_f64_e64 v[86:87], v[160:161], -v[86:87]
	v_add_f64_e32 v[34:35], v[38:39], v[34:35]
	v_add_f64_e32 v[32:33], v[36:37], v[32:33]
	v_fma_f64 v[190:191], v[74:75], s[30:31], v[40:41]
	v_fma_f64 v[192:193], v[78:79], s[14:15], v[42:43]
	;; [unrolled: 1-line block ×3, first 2 shown]
	v_fma_f64 v[42:43], v[78:79], s[14:15], -v[42:43]
	v_add_f64_e32 v[78:79], v[82:83], v[110:111]
	v_add_f64_e64 v[80:81], v[112:113], -v[80:81]
	v_mul_f64_e32 v[74:75], s[30:31], v[84:85]
	v_mul_f64_e32 v[82:83], s[36:37], v[84:85]
	v_fma_f64 v[84:85], v[54:55], s[0:1], v[128:129]
	v_fma_f64 v[110:111], v[54:55], s[18:19], v[128:129]
	;; [unrolled: 1-line block ×6, first 2 shown]
	v_add_f64_e32 v[178:179], v[22:23], v[178:179]
	v_add_f64_e32 v[44:45], v[22:23], v[44:45]
	v_add_f64_e32 v[46:47], v[20:21], v[46:47]
	v_add_f64_e32 v[180:181], v[20:21], v[180:181]
	v_mul_f64_e32 v[36:37], s[4:5], v[90:91]
	v_mul_f64_e32 v[38:39], s[20:21], v[102:103]
	;; [unrolled: 1-line block ×3, first 2 shown]
	v_add_f64_e32 v[26:27], v[34:35], v[26:27]
	v_add_f64_e32 v[24:25], v[32:33], v[24:25]
	v_fma_f64 v[32:33], v[70:71], s[24:25], v[146:147]
	v_fma_f64 v[34:35], v[70:71], s[36:37], v[146:147]
	;; [unrolled: 1-line block ×4, first 2 shown]
	v_add_f64_e32 v[40:41], v[22:23], v[40:41]
	v_add_f64_e32 v[42:43], v[20:21], v[42:43]
	;; [unrolled: 1-line block ×4, first 2 shown]
	v_fma_f64 v[78:79], v[56:57], s[26:27], -v[92:93]
	v_fma_f64 v[148:149], v[56:57], s[10:11], v[174:175]
	v_fma_f64 v[174:175], v[56:57], s[20:21], v[176:177]
	v_fma_f64 v[176:177], v[56:57], s[20:21], -v[176:177]
	v_fma_f64 v[92:93], v[56:57], s[26:27], v[92:93]
	v_add_f64_e32 v[192:193], v[20:21], v[192:193]
	v_fma_f64 v[56:57], v[56:57], s[22:23], v[154:155]
	v_add_f64_e32 v[20:21], v[20:21], v[80:81]
	v_add_f64_e32 v[112:113], v[112:113], v[178:179]
	v_mul_f64_e32 v[178:179], s[30:31], v[90:91]
	v_mul_f64_e32 v[90:91], s[28:29], v[90:91]
	v_fma_f64 v[80:81], v[54:55], s[34:35], v[132:133]
	v_fma_f64 v[132:133], v[54:55], s[4:5], v[132:133]
	;; [unrolled: 1-line block ×4, first 2 shown]
	v_add_f64_e32 v[44:45], v[128:129], v[44:45]
	v_add_f64_e32 v[46:47], v[152:153], v[46:47]
	;; [unrolled: 1-line block ×7, first 2 shown]
	v_fma_f64 v[28:29], v[54:55], s[24:25], v[140:141]
	v_fma_f64 v[30:31], v[54:55], s[36:37], v[140:141]
	;; [unrolled: 1-line block ×4, first 2 shown]
	v_fma_f64 v[82:83], v[94:95], s[26:27], -v[82:83]
	v_add_f64_e32 v[40:41], v[70:71], v[40:41]
	v_add_f64_e32 v[42:43], v[104:105], v[42:43]
	v_add_f64_e32 v[54:55], v[100:101], v[106:107]
	v_fma_f64 v[100:101], v[94:95], s[22:23], v[156:157]
	v_fma_f64 v[106:107], v[94:95], s[22:23], -v[156:157]
	v_fma_f64 v[156:157], v[94:95], s[14:15], v[74:75]
	v_fma_f64 v[74:75], v[94:95], s[14:15], -v[74:75]
	v_add_f64_e32 v[34:35], v[34:35], v[122:123]
	v_add_f64_e32 v[70:71], v[78:79], v[124:125]
	;; [unrolled: 1-line block ×11, first 2 shown]
	v_mul_f64_e32 v[94:95], s[26:27], v[60:61]
	v_mul_f64_e32 v[180:181], s[30:31], v[96:97]
	;; [unrolled: 1-line block ×3, first 2 shown]
	v_fma_f64 v[72:73], v[68:69], s[36:37], v[130:131]
	v_fma_f64 v[76:77], v[68:69], s[24:25], v[130:131]
	;; [unrolled: 1-line block ×6, first 2 shown]
	v_fma_f64 v[36:37], v[66:67], s[10:11], -v[36:37]
	v_fma_f64 v[134:135], v[66:67], s[14:15], v[178:179]
	v_fma_f64 v[144:145], v[66:67], s[20:21], v[90:91]
	v_add_f64_e32 v[84:85], v[84:85], v[112:113]
	v_add_f64_e32 v[18:19], v[26:27], v[18:19]
	;; [unrolled: 1-line block ×3, first 2 shown]
	v_fma_f64 v[24:25], v[68:69], s[12:13], v[126:127]
	v_fma_f64 v[26:27], v[68:69], s[30:31], v[126:127]
	;; [unrolled: 1-line block ×3, first 2 shown]
	v_fma_f64 v[126:127], v[66:67], s[26:27], -v[162:163]
	v_fma_f64 v[138:139], v[66:67], s[14:15], -v[178:179]
	;; [unrolled: 1-line block ×3, first 2 shown]
	v_add_f64_e32 v[30:31], v[30:31], v[40:41]
	v_add_f64_e32 v[40:41], v[82:83], v[42:43]
	;; [unrolled: 1-line block ×17, first 2 shown]
	v_fma_f64 v[54:55], v[60:61], s[20:21], -v[164:165]
	v_fma_f64 v[74:75], v[58:59], s[12:13], v[166:167]
	v_fma_f64 v[78:79], v[58:59], s[30:31], v[166:167]
	v_fma_f64 v[82:83], v[58:59], s[0:1], v[168:169]
	v_fma_f64 v[92:93], v[60:61], s[22:23], v[170:171]
	v_fma_f64 v[98:99], v[58:59], s[18:19], v[168:169]
	v_fma_f64 v[112:113], v[60:61], s[22:23], -v[170:171]
	v_fma_f64 v[118:119], v[58:59], s[4:5], v[172:173]
	v_add_f64_e64 v[62:63], v[94:95], -v[62:63]
	v_fma_f64 v[94:95], v[60:61], s[14:15], v[180:181]
	v_fma_f64 v[102:103], v[60:61], s[14:15], -v[180:181]
	v_fma_f64 v[120:121], v[60:61], s[10:11], v[96:97]
	v_add_f64_e32 v[14:15], v[18:19], v[14:15]
	v_add_f64_e32 v[12:13], v[16:17], v[12:13]
	v_fma_f64 v[16:17], v[58:59], s[28:29], v[38:39]
	v_fma_f64 v[18:19], v[60:61], s[20:21], v[164:165]
	;; [unrolled: 1-line block ×4, first 2 shown]
	v_fma_f64 v[60:61], v[60:61], s[10:11], -v[96:97]
	v_add_f64_e32 v[24:25], v[24:25], v[84:85]
	v_add_f64_e32 v[30:31], v[68:69], v[30:31]
	;; [unrolled: 1-line block ×25, first 2 shown]
	v_mul_u32_u24_e32 v44, 0xa0, v50
	v_add_f64_e32 v[22:23], v[78:79], v[76:77]
	v_add_f64_e32 v[26:27], v[98:99], v[34:35]
	;; [unrolled: 1-line block ×13, first 2 shown]
	v_add3_u32 v44, v117, v44, v115
	v_add_f64_e32 v[6:7], v[86:87], v[6:7]
	v_add_f64_e32 v[4:5], v[88:89], v[4:5]
	ds_store_b128 v44, v[28:31] offset:32
	ds_store_b128 v44, v[24:27] offset:48
	;; [unrolled: 1-line block ×9, first 2 shown]
	ds_store_b128 v44, v[4:7]
	ds_store_b128 v44, v[0:3] offset:160
.LBB0_20:
	s_or_b32 exec_lo, exec_lo, s33
	v_and_b32_e32 v4, 0xff, v50
	global_wb scope:SCOPE_SE
	s_wait_dscnt 0x0
	s_barrier_signal -1
	s_barrier_wait -1
	global_inv scope:SCOPE_SE
	v_mul_lo_u16 v4, 0x75, v4
	s_mov_b32 s4, 0x134454ff
	s_mov_b32 s5, 0x3fee6f0e
	;; [unrolled: 1-line block ×3, first 2 shown]
	s_wait_alu 0xfffe
	s_mov_b32 s0, s4
	v_lshrrev_b16 v4, 8, v4
	s_mov_b32 s12, 0x4755a5e
	s_mov_b32 s13, 0x3fe2cf23
	;; [unrolled: 1-line block ×3, first 2 shown]
	s_wait_alu 0xfffe
	s_mov_b32 s10, s12
	v_sub_nc_u16 v5, v50, v4
	s_mov_b32 s14, 0x372fe950
	s_mov_b32 s15, 0x3fd3c6ef
	;; [unrolled: 1-line block ×4, first 2 shown]
	v_lshrrev_b16 v5, 1, v5
	s_delay_alu instid0(VALU_DEP_1) | instskip(NEXT) | instid1(VALU_DEP_1)
	v_and_b32_e32 v5, 0x7f, v5
	v_add_nc_u16 v4, v5, v4
	s_delay_alu instid0(VALU_DEP_1) | instskip(NEXT) | instid1(VALU_DEP_1)
	v_lshrrev_b16 v8, 3, v4
	v_mul_lo_u16 v4, v8, 11
	v_and_b32_e32 v8, 0xffff, v8
	s_delay_alu instid0(VALU_DEP_2) | instskip(NEXT) | instid1(VALU_DEP_2)
	v_sub_nc_u16 v4, v50, v4
	v_mad_u32_u24 v8, 0x6e0, v8, 0
	s_delay_alu instid0(VALU_DEP_2) | instskip(NEXT) | instid1(VALU_DEP_1)
	v_and_b32_e32 v9, 0xff, v4
	v_mul_u32_u24_e32 v4, 9, v9
	v_lshlrev_b32_e32 v9, 4, v9
	s_delay_alu instid0(VALU_DEP_2) | instskip(NEXT) | instid1(VALU_DEP_2)
	v_lshlrev_b32_e32 v38, 4, v4
	v_add3_u32 v8, v8, v9, v115
	s_clause 0x8
	global_load_b128 v[4:7], v38, s[8:9] offset:32
	global_load_b128 v[10:13], v38, s[8:9] offset:64
	;; [unrolled: 1-line block ×4, first 2 shown]
	global_load_b128 v[22:25], v38, s[8:9]
	global_load_b128 v[26:29], v38, s[8:9] offset:16
	global_load_b128 v[30:33], v38, s[8:9] offset:48
	;; [unrolled: 1-line block ×4, first 2 shown]
	ds_load_b128 v[42:45], v51 offset:1584
	ds_load_b128 v[54:57], v51 offset:2640
	;; [unrolled: 1-line block ×6, first 2 shown]
	s_wait_loadcnt_dscnt 0x805
	v_mul_f64_e32 v[46:47], v[44:45], v[6:7]
	s_wait_loadcnt_dscnt 0x704
	v_mul_f64_e32 v[74:75], v[56:57], v[12:13]
	v_mul_f64_e32 v[12:13], v[54:55], v[12:13]
	s_wait_loadcnt_dscnt 0x603
	v_mul_f64_e32 v[76:77], v[58:59], v[16:17]
	s_wait_loadcnt_dscnt 0x502
	v_mul_f64_e32 v[78:79], v[62:63], v[20:21]
	v_mul_f64_e32 v[20:21], v[64:65], v[20:21]
	;; [unrolled: 1-line block ×4, first 2 shown]
	s_wait_loadcnt_dscnt 0x401
	v_mul_f64_e32 v[80:81], v[68:69], v[24:25]
	v_mul_f64_e32 v[24:25], v[66:67], v[24:25]
	v_fma_f64 v[42:43], v[42:43], v[4:5], -v[46:47]
	v_fma_f64 v[46:47], v[54:55], v[10:11], -v[74:75]
	v_fma_f64 v[54:55], v[56:57], v[10:11], v[12:13]
	v_fma_f64 v[56:57], v[60:61], v[14:15], v[76:77]
	;; [unrolled: 1-line block ×3, first 2 shown]
	v_fma_f64 v[18:19], v[62:63], v[18:19], -v[20:21]
	v_fma_f64 v[20:21], v[58:59], v[14:15], -v[16:17]
	v_fma_f64 v[44:45], v[44:45], v[4:5], v[6:7]
	ds_load_b128 v[4:7], v51 offset:2112
	ds_load_b128 v[10:13], v51 offset:3168
	;; [unrolled: 1-line block ×3, first 2 shown]
	s_wait_loadcnt_dscnt 0x303
	v_mul_f64_e32 v[58:59], v[72:73], v[28:29]
	v_mul_f64_e32 v[28:29], v[70:71], v[28:29]
	v_fma_f64 v[66:67], v[66:67], v[22:23], -v[80:81]
	v_fma_f64 v[22:23], v[68:69], v[22:23], v[24:25]
	s_wait_loadcnt_dscnt 0x202
	v_mul_f64_e32 v[62:63], v[6:7], v[32:33]
	v_mul_f64_e32 v[32:33], v[4:5], v[32:33]
	s_wait_loadcnt_dscnt 0x101
	v_mul_f64_e32 v[64:65], v[12:13], v[36:37]
	s_wait_loadcnt_dscnt 0x0
	v_mul_f64_e32 v[74:75], v[16:17], v[40:41]
	v_mul_f64_e32 v[36:37], v[10:11], v[36:37]
	;; [unrolled: 1-line block ×3, first 2 shown]
	v_add_f64_e64 v[80:81], v[46:47], -v[42:43]
	v_add_f64_e32 v[24:25], v[54:55], v[56:57]
	v_add_f64_e64 v[86:87], v[60:61], -v[56:57]
	v_add_f64_e32 v[76:77], v[42:43], v[18:19]
	v_add_f64_e32 v[78:79], v[46:47], v[20:21]
	;; [unrolled: 1-line block ×3, first 2 shown]
	v_add_f64_e64 v[82:83], v[20:21], -v[18:19]
	v_fma_f64 v[58:59], v[70:71], v[26:27], -v[58:59]
	v_fma_f64 v[26:27], v[72:73], v[26:27], v[28:29]
	v_add_f64_e64 v[84:85], v[44:45], -v[54:55]
	v_add_f64_e64 v[88:89], v[54:55], -v[44:45]
	;; [unrolled: 1-line block ×3, first 2 shown]
	v_fma_f64 v[28:29], v[4:5], v[30:31], -v[62:63]
	v_fma_f64 v[30:31], v[6:7], v[30:31], v[32:33]
	v_fma_f64 v[10:11], v[10:11], v[34:35], -v[64:65]
	v_fma_f64 v[14:15], v[14:15], v[38:39], -v[74:75]
	v_fma_f64 v[12:13], v[12:13], v[34:35], v[36:37]
	v_add_f64_e64 v[32:33], v[44:45], -v[60:61]
	v_add_f64_e64 v[36:37], v[42:43], -v[18:19]
	v_fma_f64 v[16:17], v[16:17], v[38:39], v[40:41]
	v_add_f64_e64 v[34:35], v[54:55], -v[56:57]
	v_add_f64_e64 v[38:39], v[46:47], -v[20:21]
	ds_load_b128 v[4:7], v116
	global_wb scope:SCOPE_SE
	s_wait_dscnt 0x0
	s_barrier_signal -1
	s_barrier_wait -1
	global_inv scope:SCOPE_SE
	v_fma_f64 v[24:25], v[24:25], -0.5, v[22:23]
	v_fma_f64 v[62:63], v[76:77], -0.5, v[66:67]
	;; [unrolled: 1-line block ×4, first 2 shown]
	v_add_f64_e64 v[76:77], v[42:43], -v[46:47]
	v_add_f64_e64 v[78:79], v[18:19], -v[20:21]
	v_add_f64_e32 v[42:43], v[66:67], v[42:43]
	v_add_f64_e32 v[22:23], v[22:23], v[44:45]
	;; [unrolled: 1-line block ×7, first 2 shown]
	v_add_f64_e64 v[104:105], v[30:31], -v[12:13]
	v_add_f64_e64 v[108:109], v[58:59], -v[14:15]
	v_add_f64_e32 v[74:75], v[26:27], v[16:17]
	v_add_f64_e64 v[102:103], v[26:27], -v[16:17]
	v_add_f64_e64 v[110:111], v[28:29], -v[10:11]
	v_fma_f64 v[92:93], v[36:37], s[0:1], v[24:25]
	v_fma_f64 v[24:25], v[36:37], s[4:5], v[24:25]
	;; [unrolled: 1-line block ×8, first 2 shown]
	v_add_f64_e32 v[42:43], v[42:43], v[46:47]
	v_add_f64_e32 v[22:23], v[22:23], v[54:55]
	v_fma_f64 v[44:45], v[68:69], -0.5, v[4:5]
	v_fma_f64 v[4:5], v[70:71], -0.5, v[4:5]
	;; [unrolled: 1-line block ×3, first 2 shown]
	v_add_f64_e32 v[68:69], v[76:77], v[78:79]
	v_add_f64_e32 v[70:71], v[80:81], v[82:83]
	;; [unrolled: 1-line block ×3, first 2 shown]
	v_fma_f64 v[6:7], v[74:75], -0.5, v[6:7]
	v_add_f64_e32 v[74:75], v[88:89], v[90:91]
	v_add_f64_e64 v[84:85], v[16:17], -v[12:13]
	v_add_f64_e64 v[86:87], v[12:13], -v[16:17]
	s_wait_alu 0xfffe
	v_fma_f64 v[76:77], v[38:39], s[10:11], v[92:93]
	v_fma_f64 v[24:25], v[38:39], s[12:13], v[24:25]
	;; [unrolled: 1-line block ×8, first 2 shown]
	v_add_f64_e64 v[38:39], v[58:59], -v[28:29]
	v_add_f64_e64 v[58:59], v[28:29], -v[58:59]
	;; [unrolled: 1-line block ×4, first 2 shown]
	v_add_f64_e32 v[28:29], v[100:101], v[28:29]
	v_add_f64_e32 v[30:31], v[106:107], v[30:31]
	v_add_f64_e64 v[40:41], v[14:15], -v[10:11]
	v_add_f64_e64 v[62:63], v[10:11], -v[14:15]
	v_add_f64_e32 v[20:21], v[42:43], v[20:21]
	v_add_f64_e32 v[22:23], v[22:23], v[56:57]
	v_fma_f64 v[46:47], v[102:103], s[4:5], v[44:45]
	v_fma_f64 v[44:45], v[102:103], s[0:1], v[44:45]
	;; [unrolled: 1-line block ×16, first 2 shown]
	v_add_f64_e32 v[26:27], v[26:27], v[86:87]
	v_add_f64_e32 v[10:11], v[28:29], v[10:11]
	;; [unrolled: 1-line block ×8, first 2 shown]
	v_fma_f64 v[28:29], v[104:105], s[12:13], v[46:47]
	v_fma_f64 v[30:31], v[104:105], s[10:11], v[44:45]
	;; [unrolled: 1-line block ×8, first 2 shown]
	v_mul_f64_e32 v[56:57], s[12:13], v[76:77]
	v_mul_f64_e32 v[74:75], s[16:17], v[24:25]
	;; [unrolled: 1-line block ×8, first 2 shown]
	v_add_f64_e32 v[14:15], v[10:11], v[14:15]
	v_add_f64_e32 v[16:17], v[12:13], v[16:17]
	v_fma_f64 v[60:61], v[38:39], s[14:15], v[28:29]
	v_fma_f64 v[84:85], v[38:39], s[14:15], v[30:31]
	;; [unrolled: 1-line block ×9, first 2 shown]
	v_fma_f64 v[36:37], v[36:37], s[4:5], -v[64:65]
	v_fma_f64 v[54:55], v[24:25], s[12:13], -v[66:67]
	v_fma_f64 v[56:57], v[76:77], s[16:17], v[68:69]
	v_fma_f64 v[42:43], v[32:33], s[14:15], v[62:63]
	;; [unrolled: 1-line block ×3, first 2 shown]
	v_fma_f64 v[62:63], v[80:81], s[0:1], -v[72:73]
	v_fma_f64 v[64:65], v[82:83], s[10:11], -v[74:75]
	v_cmp_gt_u32_e64 s0, 11, v50
	v_add_f64_e32 v[10:11], v[14:15], v[18:19]
	v_add_f64_e32 v[12:13], v[16:17], v[20:21]
	v_add_f64_e64 v[14:15], v[14:15], -v[18:19]
	v_add_f64_e64 v[16:17], v[16:17], -v[20:21]
	v_add_f64_e32 v[18:19], v[60:61], v[34:35]
	v_add_f64_e64 v[34:35], v[60:61], -v[34:35]
	v_add_f64_e32 v[26:27], v[4:5], v[36:37]
	v_add_f64_e32 v[30:31], v[84:85], v[54:55]
	v_add_f64_e32 v[20:21], v[40:41], v[56:57]
	v_add_f64_e32 v[22:23], v[38:39], v[42:43]
	v_add_f64_e32 v[24:25], v[44:45], v[58:59]
	v_add_f64_e32 v[28:29], v[6:7], v[62:63]
	v_add_f64_e32 v[32:33], v[46:47], v[64:65]
	v_add_f64_e64 v[38:39], v[38:39], -v[42:43]
	v_add_f64_e64 v[42:43], v[4:5], -v[36:37]
	v_add_f64_e64 v[36:37], v[40:41], -v[56:57]
	v_add_f64_e64 v[40:41], v[44:45], -v[58:59]
	v_add_f64_e64 v[44:45], v[6:7], -v[62:63]
	v_add_f64_e64 v[4:5], v[84:85], -v[54:55]
	v_add_f64_e64 v[6:7], v[46:47], -v[64:65]
	ds_store_b128 v8, v[10:13]
	ds_store_b128 v8, v[18:21] offset:176
	ds_store_b128 v8, v[22:25] offset:352
	;; [unrolled: 1-line block ×9, first 2 shown]
	global_wb scope:SCOPE_SE
	s_wait_dscnt 0x0
	s_barrier_signal -1
	s_barrier_wait -1
	global_inv scope:SCOPE_SE
	ds_load_b128 v[20:23], v116
	ds_load_b128 v[12:15], v51 offset:528
	ds_load_b128 v[36:39], v51 offset:3520
	;; [unrolled: 1-line block ×8, first 2 shown]
                                        ; implicit-def: $vgpr10_vgpr11
	s_and_saveexec_b32 s1, s0
	s_cbranch_execz .LBB0_22
; %bb.21:
	ds_load_b128 v[4:7], v51 offset:1584
	ds_load_b128 v[0:3], v51 offset:3344
	;; [unrolled: 1-line block ×3, first 2 shown]
.LBB0_22:
	s_wait_alu 0xfffe
	s_or_b32 exec_lo, exec_lo, s1
	v_dual_mov_b32 v55, 0 :: v_dual_lshlrev_b32 v54, 1, v50
	s_mov_b32 s4, 0xe8584caa
	s_mov_b32 s5, 0x3febb67a
	;; [unrolled: 1-line block ×3, first 2 shown]
	s_delay_alu instid0(VALU_DEP_1)
	v_dual_mov_b32 v59, v55 :: v_dual_add_nc_u32 v58, 0x42, v54
	v_lshlrev_b64_e32 v[56:57], 4, v[54:55]
	v_add_nc_u32_e32 v54, 0x84, v54
	s_wait_alu 0xfffe
	s_mov_b32 s10, s4
	v_lshlrev_b64_e32 v[64:65], 4, v[58:59]
	s_delay_alu instid0(VALU_DEP_3) | instskip(SKIP_3) | instid1(VALU_DEP_4)
	v_add_co_u32 v60, s1, s8, v56
	v_lshlrev_b64_e32 v[66:67], 4, v[54:55]
	s_wait_alu 0xf1ff
	v_add_co_ci_u32_e64 v61, s1, s9, v57, s1
	v_add_co_u32 v68, s1, s8, v64
	s_wait_alu 0xf1ff
	v_add_co_ci_u32_e64 v69, s1, s9, v65, s1
	s_clause 0x1
	global_load_b128 v[56:59], v[60:61], off offset:1600
	global_load_b128 v[60:63], v[60:61], off offset:1584
	v_add_co_u32 v76, s1, s8, v66
	s_wait_alu 0xf1ff
	v_add_co_ci_u32_e64 v77, s1, s9, v67, s1
	s_clause 0x3
	global_load_b128 v[64:67], v[68:69], off offset:1584
	global_load_b128 v[68:71], v[68:69], off offset:1600
	;; [unrolled: 1-line block ×4, first 2 shown]
	global_wb scope:SCOPE_SE
	s_wait_loadcnt_dscnt 0x0
	s_barrier_signal -1
	s_barrier_wait -1
	global_inv scope:SCOPE_SE
	v_mul_f64_e32 v[82:83], v[38:39], v[58:59]
	v_mul_f64_e32 v[80:81], v[46:47], v[62:63]
	;; [unrolled: 1-line block ×12, first 2 shown]
	v_fma_f64 v[36:37], v[36:37], v[56:57], -v[82:83]
	v_fma_f64 v[44:45], v[44:45], v[60:61], -v[80:81]
	v_fma_f64 v[46:47], v[46:47], v[60:61], v[62:63]
	v_fma_f64 v[38:39], v[38:39], v[56:57], v[58:59]
	v_fma_f64 v[40:41], v[40:41], v[64:65], -v[84:85]
	v_fma_f64 v[24:25], v[24:25], v[68:69], -v[86:87]
	v_fma_f64 v[42:43], v[42:43], v[64:65], v[66:67]
	v_fma_f64 v[26:27], v[26:27], v[68:69], v[70:71]
	;; [unrolled: 4-line block ×3, first 2 shown]
	v_add_f64_e32 v[56:57], v[44:45], v[36:37]
	v_add_f64_e32 v[68:69], v[20:21], v[44:45]
	;; [unrolled: 1-line block ×3, first 2 shown]
	v_add_f64_e64 v[70:71], v[46:47], -v[38:39]
	v_add_f64_e32 v[60:61], v[40:41], v[24:25]
	v_add_f64_e32 v[46:47], v[22:23], v[46:47]
	;; [unrolled: 1-line block ×7, first 2 shown]
	v_add_f64_e64 v[44:45], v[44:45], -v[36:37]
	v_add_f64_e32 v[76:77], v[16:17], v[28:29]
	v_add_f64_e32 v[78:79], v[18:19], v[30:31]
	v_add_f64_e64 v[42:43], v[42:43], -v[26:27]
	v_add_f64_e64 v[40:41], v[40:41], -v[24:25]
	;; [unrolled: 1-line block ×4, first 2 shown]
	v_fma_f64 v[56:57], v[56:57], -0.5, v[20:21]
	v_fma_f64 v[58:59], v[58:59], -0.5, v[22:23]
	;; [unrolled: 1-line block ×3, first 2 shown]
	v_add_f64_e32 v[12:13], v[68:69], v[36:37]
	v_fma_f64 v[62:63], v[62:63], -0.5, v[14:15]
	v_add_f64_e32 v[14:15], v[46:47], v[38:39]
	v_fma_f64 v[64:65], v[64:65], -0.5, v[16:17]
	;; [unrolled: 2-line block ×3, first 2 shown]
	v_add_f64_e32 v[18:19], v[74:75], v[26:27]
	v_add_f64_e32 v[20:21], v[76:77], v[32:33]
	;; [unrolled: 1-line block ×3, first 2 shown]
	v_fma_f64 v[24:25], v[70:71], s[4:5], v[56:57]
	s_wait_alu 0xfffe
	v_fma_f64 v[28:29], v[70:71], s[10:11], v[56:57]
	v_fma_f64 v[26:27], v[44:45], s[10:11], v[58:59]
	;; [unrolled: 1-line block ×11, first 2 shown]
	ds_store_b128 v51, v[12:15]
	ds_store_b128 v51, v[16:19] offset:528
	ds_store_b128 v51, v[24:27] offset:1760
	;; [unrolled: 1-line block ×8, first 2 shown]
	s_and_saveexec_b32 s1, s0
	s_cbranch_execz .LBB0_24
; %bb.23:
	v_cndmask_b32_e64 v12, -11, 0x63, s0
	s_delay_alu instid0(VALU_DEP_1) | instskip(NEXT) | instid1(VALU_DEP_1)
	v_add_lshl_u32 v54, v50, v12, 1
	v_lshlrev_b64_e32 v[12:13], 4, v[54:55]
	s_delay_alu instid0(VALU_DEP_1) | instskip(SKIP_1) | instid1(VALU_DEP_2)
	v_add_co_u32 v16, s0, s8, v12
	s_wait_alu 0xf1ff
	v_add_co_ci_u32_e64 v17, s0, s9, v13, s0
	s_clause 0x1
	global_load_b128 v[12:15], v[16:17], off offset:1584
	global_load_b128 v[16:19], v[16:17], off offset:1600
	s_wait_loadcnt 0x1
	v_mul_f64_e32 v[20:21], v[0:1], v[14:15]
	s_wait_loadcnt 0x0
	v_mul_f64_e32 v[22:23], v[8:9], v[18:19]
	v_mul_f64_e32 v[14:15], v[2:3], v[14:15]
	v_mul_f64_e32 v[18:19], v[10:11], v[18:19]
	s_delay_alu instid0(VALU_DEP_4) | instskip(NEXT) | instid1(VALU_DEP_4)
	v_fma_f64 v[2:3], v[2:3], v[12:13], v[20:21]
	v_fma_f64 v[10:11], v[10:11], v[16:17], v[22:23]
	s_delay_alu instid0(VALU_DEP_4) | instskip(NEXT) | instid1(VALU_DEP_4)
	v_fma_f64 v[0:1], v[0:1], v[12:13], -v[14:15]
	v_fma_f64 v[8:9], v[8:9], v[16:17], -v[18:19]
	s_delay_alu instid0(VALU_DEP_4) | instskip(NEXT) | instid1(VALU_DEP_4)
	v_add_f64_e32 v[18:19], v[6:7], v[2:3]
	v_add_f64_e32 v[12:13], v[2:3], v[10:11]
	v_add_f64_e64 v[20:21], v[2:3], -v[10:11]
	s_delay_alu instid0(VALU_DEP_4)
	v_add_f64_e32 v[14:15], v[0:1], v[8:9]
	v_add_f64_e64 v[16:17], v[0:1], -v[8:9]
	v_add_f64_e32 v[0:1], v[4:5], v[0:1]
	v_add_f64_e32 v[2:3], v[18:19], v[10:11]
	v_fma_f64 v[12:13], v[12:13], -0.5, v[6:7]
	v_fma_f64 v[4:5], v[14:15], -0.5, v[4:5]
	s_delay_alu instid0(VALU_DEP_4) | instskip(NEXT) | instid1(VALU_DEP_3)
	v_add_f64_e32 v[0:1], v[0:1], v[8:9]
	v_fma_f64 v[10:11], v[16:17], s[10:11], v[12:13]
	v_fma_f64 v[6:7], v[16:17], s[4:5], v[12:13]
	s_delay_alu instid0(VALU_DEP_4)
	v_fma_f64 v[8:9], v[20:21], s[4:5], v[4:5]
	v_fma_f64 v[4:5], v[20:21], s[10:11], v[4:5]
	ds_store_b128 v51, v[0:3] offset:1584
	ds_store_b128 v51, v[8:11] offset:3344
	;; [unrolled: 1-line block ×3, first 2 shown]
.LBB0_24:
	s_wait_alu 0xfffe
	s_or_b32 exec_lo, exec_lo, s1
	global_wb scope:SCOPE_SE
	s_wait_dscnt 0x0
	s_barrier_signal -1
	s_barrier_wait -1
	global_inv scope:SCOPE_SE
	s_and_saveexec_b32 s0, vcc_lo
	s_cbranch_execz .LBB0_26
; %bb.25:
	v_mul_lo_u32 v2, s3, v52
	v_mul_lo_u32 v3, s2, v53
	v_mad_co_u64_u32 v[0:1], null, s2, v52, 0
	v_dual_mov_b32 v51, 0 :: v_dual_add_nc_u32 v10, 33, v50
	v_lshlrev_b64_e32 v[8:9], 4, v[48:49]
	v_lshl_add_u32 v34, v50, 4, v114
	s_delay_alu instid0(VALU_DEP_3) | instskip(SKIP_4) | instid1(VALU_DEP_4)
	v_dual_mov_b32 v11, v51 :: v_dual_add_nc_u32 v12, 0x42, v50
	v_add3_u32 v1, v1, v3, v2
	v_lshlrev_b64_e32 v[14:15], 4, v[50:51]
	v_dual_mov_b32 v13, v51 :: v_dual_add_nc_u32 v22, 0x63, v50
	v_dual_mov_b32 v23, v51 :: v_dual_add_nc_u32 v24, 0x84, v50
	v_lshlrev_b64_e32 v[16:17], 4, v[0:1]
	ds_load_b128 v[0:3], v34
	ds_load_b128 v[4:7], v34 offset:528
	v_mov_b32_e32 v25, v51
	v_lshlrev_b64_e32 v[22:23], 4, v[22:23]
	v_add_co_u32 v18, vcc_lo, s6, v16
	s_wait_alu 0xfffd
	v_add_co_ci_u32_e32 v19, vcc_lo, s7, v17, vcc_lo
	v_lshlrev_b64_e32 v[16:17], 4, v[10:11]
	s_delay_alu instid0(VALU_DEP_3) | instskip(SKIP_1) | instid1(VALU_DEP_3)
	v_add_co_u32 v36, vcc_lo, v18, v8
	s_wait_alu 0xfffd
	v_add_co_ci_u32_e32 v37, vcc_lo, v19, v9, vcc_lo
	v_lshlrev_b64_e32 v[18:19], 4, v[12:13]
	s_delay_alu instid0(VALU_DEP_3) | instskip(SKIP_1) | instid1(VALU_DEP_3)
	v_add_co_u32 v20, vcc_lo, v36, v14
	s_wait_alu 0xfffd
	v_add_co_ci_u32_e32 v21, vcc_lo, v37, v15, vcc_lo
	ds_load_b128 v[8:11], v34 offset:1056
	ds_load_b128 v[12:15], v34 offset:1584
	v_add_co_u32 v16, vcc_lo, v36, v16
	s_wait_alu 0xfffd
	v_add_co_ci_u32_e32 v17, vcc_lo, v37, v17, vcc_lo
	v_add_co_u32 v18, vcc_lo, v36, v18
	s_wait_alu 0xfffd
	v_add_co_ci_u32_e32 v19, vcc_lo, v37, v19, vcc_lo
	v_add_co_u32 v22, vcc_lo, v36, v22
	s_wait_dscnt 0x3
	global_store_b128 v[20:21], v[0:3], off
	s_wait_dscnt 0x2
	global_store_b128 v[16:17], v[4:7], off
	v_dual_mov_b32 v3, v51 :: v_dual_add_nc_u32 v2, 0xa5, v50
	s_wait_alu 0xfffd
	v_add_co_ci_u32_e32 v23, vcc_lo, v37, v23, vcc_lo
	v_lshlrev_b64_e32 v[0:1], 4, v[24:25]
	s_wait_dscnt 0x1
	global_store_b128 v[18:19], v[8:11], off
	s_wait_dscnt 0x0
	global_store_b128 v[22:23], v[12:15], off
	v_add_nc_u32_e32 v10, 0xc6, v50
	v_lshlrev_b64_e32 v[8:9], 4, v[2:3]
	v_add_co_u32 v24, vcc_lo, v36, v0
	v_dual_mov_b32 v11, v51 :: v_dual_add_nc_u32 v16, 0xe7, v50
	s_wait_alu 0xfffd
	v_add_co_ci_u32_e32 v25, vcc_lo, v37, v1, vcc_lo
	s_delay_alu instid0(VALU_DEP_4)
	v_add_co_u32 v26, vcc_lo, v36, v8
	s_wait_alu 0xfffd
	v_add_co_ci_u32_e32 v27, vcc_lo, v37, v9, vcc_lo
	v_lshlrev_b64_e32 v[8:9], 4, v[10:11]
	v_dual_mov_b32 v17, v51 :: v_dual_add_nc_u32 v18, 0x108, v50
	v_dual_mov_b32 v19, v51 :: v_dual_add_nc_u32 v50, 0x129, v50
	ds_load_b128 v[0:3], v34 offset:2112
	ds_load_b128 v[4:7], v34 offset:2640
	v_add_co_u32 v28, vcc_lo, v36, v8
	s_wait_alu 0xfffd
	v_add_co_ci_u32_e32 v29, vcc_lo, v37, v9, vcc_lo
	ds_load_b128 v[8:11], v34 offset:3168
	ds_load_b128 v[12:15], v34 offset:3696
	v_lshlrev_b64_e32 v[30:31], 4, v[16:17]
	v_lshlrev_b64_e32 v[32:33], 4, v[18:19]
	ds_load_b128 v[16:19], v34 offset:4224
	ds_load_b128 v[20:23], v34 offset:4752
	v_lshlrev_b64_e32 v[34:35], 4, v[50:51]
	v_add_co_u32 v30, vcc_lo, v36, v30
	s_wait_alu 0xfffd
	v_add_co_ci_u32_e32 v31, vcc_lo, v37, v31, vcc_lo
	v_add_co_u32 v32, vcc_lo, v36, v32
	s_wait_alu 0xfffd
	v_add_co_ci_u32_e32 v33, vcc_lo, v37, v33, vcc_lo
	;; [unrolled: 3-line block ×3, first 2 shown]
	s_wait_dscnt 0x5
	global_store_b128 v[24:25], v[0:3], off
	s_wait_dscnt 0x4
	global_store_b128 v[26:27], v[4:7], off
	;; [unrolled: 2-line block ×6, first 2 shown]
.LBB0_26:
	s_nop 0
	s_sendmsg sendmsg(MSG_DEALLOC_VGPRS)
	s_endpgm
	.section	.rodata,"a",@progbits
	.p2align	6, 0x0
	.amdhsa_kernel fft_rtc_fwd_len330_factors_11_10_3_wgs_99_tpt_33_dp_op_CI_CI_unitstride_sbrr_C2R_dirReg
		.amdhsa_group_segment_fixed_size 0
		.amdhsa_private_segment_fixed_size 0
		.amdhsa_kernarg_size 104
		.amdhsa_user_sgpr_count 2
		.amdhsa_user_sgpr_dispatch_ptr 0
		.amdhsa_user_sgpr_queue_ptr 0
		.amdhsa_user_sgpr_kernarg_segment_ptr 1
		.amdhsa_user_sgpr_dispatch_id 0
		.amdhsa_user_sgpr_private_segment_size 0
		.amdhsa_wavefront_size32 1
		.amdhsa_uses_dynamic_stack 0
		.amdhsa_enable_private_segment 0
		.amdhsa_system_sgpr_workgroup_id_x 1
		.amdhsa_system_sgpr_workgroup_id_y 0
		.amdhsa_system_sgpr_workgroup_id_z 0
		.amdhsa_system_sgpr_workgroup_info 0
		.amdhsa_system_vgpr_workitem_id 0
		.amdhsa_next_free_vgpr 194
		.amdhsa_next_free_sgpr 39
		.amdhsa_reserve_vcc 1
		.amdhsa_float_round_mode_32 0
		.amdhsa_float_round_mode_16_64 0
		.amdhsa_float_denorm_mode_32 3
		.amdhsa_float_denorm_mode_16_64 3
		.amdhsa_fp16_overflow 0
		.amdhsa_workgroup_processor_mode 1
		.amdhsa_memory_ordered 1
		.amdhsa_forward_progress 0
		.amdhsa_round_robin_scheduling 0
		.amdhsa_exception_fp_ieee_invalid_op 0
		.amdhsa_exception_fp_denorm_src 0
		.amdhsa_exception_fp_ieee_div_zero 0
		.amdhsa_exception_fp_ieee_overflow 0
		.amdhsa_exception_fp_ieee_underflow 0
		.amdhsa_exception_fp_ieee_inexact 0
		.amdhsa_exception_int_div_zero 0
	.end_amdhsa_kernel
	.text
.Lfunc_end0:
	.size	fft_rtc_fwd_len330_factors_11_10_3_wgs_99_tpt_33_dp_op_CI_CI_unitstride_sbrr_C2R_dirReg, .Lfunc_end0-fft_rtc_fwd_len330_factors_11_10_3_wgs_99_tpt_33_dp_op_CI_CI_unitstride_sbrr_C2R_dirReg
                                        ; -- End function
	.section	.AMDGPU.csdata,"",@progbits
; Kernel info:
; codeLenInByte = 8776
; NumSgprs: 41
; NumVgprs: 194
; ScratchSize: 0
; MemoryBound: 0
; FloatMode: 240
; IeeeMode: 1
; LDSByteSize: 0 bytes/workgroup (compile time only)
; SGPRBlocks: 5
; VGPRBlocks: 24
; NumSGPRsForWavesPerEU: 41
; NumVGPRsForWavesPerEU: 194
; Occupancy: 7
; WaveLimiterHint : 1
; COMPUTE_PGM_RSRC2:SCRATCH_EN: 0
; COMPUTE_PGM_RSRC2:USER_SGPR: 2
; COMPUTE_PGM_RSRC2:TRAP_HANDLER: 0
; COMPUTE_PGM_RSRC2:TGID_X_EN: 1
; COMPUTE_PGM_RSRC2:TGID_Y_EN: 0
; COMPUTE_PGM_RSRC2:TGID_Z_EN: 0
; COMPUTE_PGM_RSRC2:TIDIG_COMP_CNT: 0
	.text
	.p2alignl 7, 3214868480
	.fill 96, 4, 3214868480
	.type	__hip_cuid_657a0fe0ead564a7,@object ; @__hip_cuid_657a0fe0ead564a7
	.section	.bss,"aw",@nobits
	.globl	__hip_cuid_657a0fe0ead564a7
__hip_cuid_657a0fe0ead564a7:
	.byte	0                               ; 0x0
	.size	__hip_cuid_657a0fe0ead564a7, 1

	.ident	"AMD clang version 19.0.0git (https://github.com/RadeonOpenCompute/llvm-project roc-6.4.0 25133 c7fe45cf4b819c5991fe208aaa96edf142730f1d)"
	.section	".note.GNU-stack","",@progbits
	.addrsig
	.addrsig_sym __hip_cuid_657a0fe0ead564a7
	.amdgpu_metadata
---
amdhsa.kernels:
  - .args:
      - .actual_access:  read_only
        .address_space:  global
        .offset:         0
        .size:           8
        .value_kind:     global_buffer
      - .offset:         8
        .size:           8
        .value_kind:     by_value
      - .actual_access:  read_only
        .address_space:  global
        .offset:         16
        .size:           8
        .value_kind:     global_buffer
      - .actual_access:  read_only
        .address_space:  global
        .offset:         24
        .size:           8
        .value_kind:     global_buffer
      - .actual_access:  read_only
        .address_space:  global
        .offset:         32
        .size:           8
        .value_kind:     global_buffer
      - .offset:         40
        .size:           8
        .value_kind:     by_value
      - .actual_access:  read_only
        .address_space:  global
        .offset:         48
        .size:           8
        .value_kind:     global_buffer
      - .actual_access:  read_only
        .address_space:  global
        .offset:         56
        .size:           8
        .value_kind:     global_buffer
      - .offset:         64
        .size:           4
        .value_kind:     by_value
      - .actual_access:  read_only
        .address_space:  global
        .offset:         72
        .size:           8
        .value_kind:     global_buffer
      - .actual_access:  read_only
        .address_space:  global
        .offset:         80
        .size:           8
        .value_kind:     global_buffer
      - .actual_access:  read_only
        .address_space:  global
        .offset:         88
        .size:           8
        .value_kind:     global_buffer
      - .actual_access:  write_only
        .address_space:  global
        .offset:         96
        .size:           8
        .value_kind:     global_buffer
    .group_segment_fixed_size: 0
    .kernarg_segment_align: 8
    .kernarg_segment_size: 104
    .language:       OpenCL C
    .language_version:
      - 2
      - 0
    .max_flat_workgroup_size: 99
    .name:           fft_rtc_fwd_len330_factors_11_10_3_wgs_99_tpt_33_dp_op_CI_CI_unitstride_sbrr_C2R_dirReg
    .private_segment_fixed_size: 0
    .sgpr_count:     41
    .sgpr_spill_count: 0
    .symbol:         fft_rtc_fwd_len330_factors_11_10_3_wgs_99_tpt_33_dp_op_CI_CI_unitstride_sbrr_C2R_dirReg.kd
    .uniform_work_group_size: 1
    .uses_dynamic_stack: false
    .vgpr_count:     194
    .vgpr_spill_count: 0
    .wavefront_size: 32
    .workgroup_processor_mode: 1
amdhsa.target:   amdgcn-amd-amdhsa--gfx1201
amdhsa.version:
  - 1
  - 2
...

	.end_amdgpu_metadata
